;; amdgpu-corpus repo=ROCm/rocFFT kind=compiled arch=gfx906 opt=O3
	.text
	.amdgcn_target "amdgcn-amd-amdhsa--gfx906"
	.amdhsa_code_object_version 6
	.protected	bluestein_single_fwd_len210_dim1_dp_op_CI_CI ; -- Begin function bluestein_single_fwd_len210_dim1_dp_op_CI_CI
	.globl	bluestein_single_fwd_len210_dim1_dp_op_CI_CI
	.p2align	8
	.type	bluestein_single_fwd_len210_dim1_dp_op_CI_CI,@function
bluestein_single_fwd_len210_dim1_dp_op_CI_CI: ; @bluestein_single_fwd_len210_dim1_dp_op_CI_CI
; %bb.0:
	s_load_dwordx4 s[0:3], s[4:5], 0x28
	v_mul_u32_u24_e32 v1, 0x889, v0
	v_lshrrev_b32_e32 v1, 16, v1
	v_lshl_add_u32 v96, s6, 1, v1
	v_mov_b32_e32 v97, 0
	s_waitcnt lgkmcnt(0)
	v_cmp_gt_u64_e32 vcc, s[0:1], v[96:97]
	s_and_saveexec_b64 s[0:1], vcc
	s_cbranch_execz .LBB0_23
; %bb.1:
	s_load_dwordx2 s[14:15], s[4:5], 0x0
	s_load_dwordx2 s[12:13], s[4:5], 0x38
	v_mul_lo_u16_e32 v2, 30, v1
	v_sub_u16_e32 v129, v0, v2
	v_and_b32_e32 v0, 1, v1
	v_mov_b32_e32 v1, 0xd2
	v_cmp_eq_u32_e32 vcc, 1, v0
	v_cndmask_b32_e32 v131, 0, v1, vcc
	v_cmp_gt_u16_e32 vcc, 21, v129
	v_lshlrev_b32_e32 v130, 4, v129
	v_lshlrev_b32_e32 v132, 4, v131
	s_and_saveexec_b64 s[6:7], vcc
	s_cbranch_execz .LBB0_3
; %bb.2:
	s_load_dwordx2 s[0:1], s[4:5], 0x18
	v_lshl_add_u32 v92, v129, 4, v132
	v_add_u32_e32 v93, v132, v130
	s_waitcnt lgkmcnt(0)
	s_load_dwordx4 s[8:11], s[0:1], 0x0
	s_waitcnt lgkmcnt(0)
	v_mad_u64_u32 v[0:1], s[0:1], s10, v96, 0
	v_mad_u64_u32 v[2:3], s[0:1], s8, v129, 0
	;; [unrolled: 1-line block ×4, first 2 shown]
	v_mov_b32_e32 v1, v4
	v_lshlrev_b64 v[0:1], 4, v[0:1]
	v_mov_b32_e32 v3, v5
	v_mov_b32_e32 v6, s3
	v_lshlrev_b64 v[2:3], 4, v[2:3]
	v_add_co_u32_e64 v0, s[0:1], s2, v0
	v_addc_co_u32_e64 v1, s[0:1], v6, v1, s[0:1]
	v_add_co_u32_e64 v16, s[0:1], v0, v2
	v_addc_co_u32_e64 v17, s[0:1], v1, v3, s[0:1]
	s_mul_i32 s0, s9, 0x150
	s_mul_hi_u32 s3, s8, 0x150
	s_add_i32 s3, s3, s0
	s_mul_i32 s2, s8, 0x150
	v_mov_b32_e32 v0, s3
	v_add_co_u32_e64 v18, s[0:1], s2, v16
	v_addc_co_u32_e64 v19, s[0:1], v17, v0, s[0:1]
	global_load_dwordx4 v[0:3], v[16:17], off
	global_load_dwordx4 v[4:7], v[18:19], off
	global_load_dwordx4 v[8:11], v130, s[14:15]
	global_load_dwordx4 v[12:15], v130, s[14:15] offset:336
	v_mov_b32_e32 v16, s3
	v_add_co_u32_e64 v56, s[0:1], s2, v18
	v_addc_co_u32_e64 v57, s[0:1], v19, v16, s[0:1]
	v_mov_b32_e32 v48, s3
	v_add_co_u32_e64 v58, s[0:1], s2, v56
	v_addc_co_u32_e64 v59, s[0:1], v57, v48, s[0:1]
	v_mov_b32_e32 v61, s3
	v_add_co_u32_e64 v60, s[0:1], s2, v58
	v_addc_co_u32_e64 v61, s[0:1], v59, v61, s[0:1]
	v_mov_b32_e32 v62, s3
	v_add_co_u32_e64 v64, s[0:1], s2, v60
	global_load_dwordx4 v[16:19], v130, s[14:15] offset:672
	global_load_dwordx4 v[20:23], v130, s[14:15] offset:1008
	;; [unrolled: 1-line block ×8, first 2 shown]
	global_load_dwordx4 v[48:51], v[56:57], off
	global_load_dwordx4 v[52:55], v[58:59], off
	v_addc_co_u32_e64 v65, s[0:1], v61, v62, s[0:1]
	global_load_dwordx4 v[56:59], v[60:61], off
	v_mov_b32_e32 v66, s3
	global_load_dwordx4 v[60:63], v[64:65], off
	v_add_co_u32_e64 v68, s[0:1], s2, v64
	v_addc_co_u32_e64 v69, s[0:1], v65, v66, s[0:1]
	v_mov_b32_e32 v70, s3
	v_add_co_u32_e64 v72, s[0:1], s2, v68
	v_addc_co_u32_e64 v73, s[0:1], v69, v70, s[0:1]
	v_mov_b32_e32 v74, s3
	v_add_co_u32_e64 v76, s[0:1], s2, v72
	global_load_dwordx4 v[64:67], v[68:69], off
	v_addc_co_u32_e64 v77, s[0:1], v73, v74, s[0:1]
	v_mov_b32_e32 v78, s3
	global_load_dwordx4 v[68:71], v[72:73], off
	s_waitcnt vmcnt(15)
	v_mul_f64 v[80:81], v[2:3], v[10:11]
	global_load_dwordx4 v[72:75], v[76:77], off
	v_add_co_u32_e64 v76, s[0:1], s2, v76
	v_addc_co_u32_e64 v77, s[0:1], v77, v78, s[0:1]
	global_load_dwordx4 v[76:79], v[76:77], off
	v_mul_f64 v[10:11], v[0:1], v[10:11]
	s_waitcnt vmcnt(16)
	v_mul_f64 v[82:83], v[6:7], v[14:15]
	v_mul_f64 v[14:15], v[4:5], v[14:15]
	v_fma_f64 v[0:1], v[0:1], v[8:9], v[80:81]
	v_fma_f64 v[2:3], v[2:3], v[8:9], -v[10:11]
	v_fma_f64 v[4:5], v[4:5], v[12:13], v[82:83]
	v_fma_f64 v[6:7], v[6:7], v[12:13], -v[14:15]
	ds_write_b128 v92, v[0:3]
	ds_write_b128 v93, v[4:7] offset:336
	s_waitcnt vmcnt(7)
	v_mul_f64 v[84:85], v[50:51], v[18:19]
	v_mul_f64 v[18:19], v[48:49], v[18:19]
	s_waitcnt vmcnt(5)
	v_mul_f64 v[88:89], v[58:59], v[26:27]
	v_mul_f64 v[26:27], v[56:57], v[26:27]
	;; [unrolled: 1-line block ×4, first 2 shown]
	s_waitcnt vmcnt(4)
	v_mul_f64 v[90:91], v[62:63], v[30:31]
	v_mul_f64 v[30:31], v[60:61], v[30:31]
	v_fma_f64 v[8:9], v[48:49], v[16:17], v[84:85]
	v_fma_f64 v[10:11], v[50:51], v[16:17], -v[18:19]
	v_fma_f64 v[16:17], v[56:57], v[24:25], v[88:89]
	v_fma_f64 v[18:19], v[58:59], v[24:25], -v[26:27]
	;; [unrolled: 2-line block ×3, first 2 shown]
	s_waitcnt vmcnt(3)
	v_mul_f64 v[0:1], v[66:67], v[34:35]
	v_mul_f64 v[2:3], v[64:65], v[34:35]
	v_fma_f64 v[20:21], v[60:61], v[28:29], v[90:91]
	v_fma_f64 v[22:23], v[62:63], v[28:29], -v[30:31]
	s_waitcnt vmcnt(2)
	v_mul_f64 v[4:5], v[70:71], v[38:39]
	v_mul_f64 v[6:7], v[68:69], v[38:39]
	v_fma_f64 v[0:1], v[64:65], v[32:33], v[0:1]
	v_fma_f64 v[2:3], v[66:67], v[32:33], -v[2:3]
	v_fma_f64 v[4:5], v[68:69], v[36:37], v[4:5]
	v_fma_f64 v[6:7], v[70:71], v[36:37], -v[6:7]
	s_waitcnt vmcnt(1)
	v_mul_f64 v[24:25], v[74:75], v[42:43]
	v_mul_f64 v[26:27], v[72:73], v[42:43]
	s_waitcnt vmcnt(0)
	v_mul_f64 v[28:29], v[78:79], v[46:47]
	v_mul_f64 v[30:31], v[76:77], v[46:47]
	v_fma_f64 v[24:25], v[72:73], v[40:41], v[24:25]
	v_fma_f64 v[26:27], v[74:75], v[40:41], -v[26:27]
	v_fma_f64 v[28:29], v[76:77], v[44:45], v[28:29]
	v_fma_f64 v[30:31], v[78:79], v[44:45], -v[30:31]
	ds_write_b128 v93, v[8:11] offset:672
	ds_write_b128 v93, v[12:15] offset:1008
	;; [unrolled: 1-line block ×8, first 2 shown]
.LBB0_3:
	s_or_b64 exec, exec, s[6:7]
	s_load_dwordx2 s[0:1], s[4:5], 0x20
	s_load_dwordx2 s[8:9], s[4:5], 0x8
	s_waitcnt lgkmcnt(0)
	; wave barrier
	s_waitcnt lgkmcnt(0)
                                        ; implicit-def: $vgpr0_vgpr1
                                        ; implicit-def: $vgpr4_vgpr5
                                        ; implicit-def: $vgpr12_vgpr13
                                        ; implicit-def: $vgpr20_vgpr21
                                        ; implicit-def: $vgpr16_vgpr17
                                        ; implicit-def: $vgpr24_vgpr25
                                        ; implicit-def: $vgpr28_vgpr29
                                        ; implicit-def: $vgpr32_vgpr33
                                        ; implicit-def: $vgpr36_vgpr37
                                        ; implicit-def: $vgpr40_vgpr41
	s_and_saveexec_b64 s[2:3], vcc
	s_cbranch_execz .LBB0_5
; %bb.4:
	v_lshl_add_u32 v8, v131, 4, v130
	ds_read_b128 v[0:3], v8
	ds_read_b128 v[4:7], v8 offset:336
	ds_read_b128 v[12:15], v8 offset:672
	;; [unrolled: 1-line block ×9, first 2 shown]
.LBB0_5:
	s_or_b64 exec, exec, s[2:3]
	s_waitcnt lgkmcnt(0)
	v_add_f64 v[8:9], v[12:13], v[36:37]
	v_add_f64 v[50:51], v[18:19], -v[30:31]
	v_add_f64 v[46:47], v[16:17], -v[12:13]
	;; [unrolled: 1-line block ×3, first 2 shown]
	v_add_f64 v[54:55], v[14:15], v[38:39]
	s_mov_b32 s4, 0x134454ff
	s_mov_b32 s5, 0x3fee6f0e
	;; [unrolled: 1-line block ×3, first 2 shown]
	v_fma_f64 v[8:9], v[8:9], -0.5, v[0:1]
	s_mov_b32 s10, s4
	v_add_f64 v[48:49], v[14:15], -v[38:39]
	v_add_f64 v[10:11], v[12:13], -v[16:17]
	v_add_f64 v[44:45], v[36:37], -v[28:29]
	v_add_f64 v[64:65], v[16:17], -v[28:29]
	v_add_f64 v[46:47], v[46:47], v[52:53]
	v_fma_f64 v[52:53], v[54:55], -0.5, v[2:3]
	v_fma_f64 v[56:57], v[50:51], s[10:11], v[8:9]
	v_fma_f64 v[8:9], v[50:51], s[4:5], v[8:9]
	s_mov_b32 s2, 0x4755a5e
	s_mov_b32 s3, 0x3fe2cf23
	;; [unrolled: 1-line block ×4, first 2 shown]
	v_add_f64 v[62:63], v[12:13], -v[36:37]
	v_add_f64 v[58:59], v[18:19], -v[14:15]
	v_fma_f64 v[54:55], v[48:49], s[2:3], v[56:57]
	v_add_f64 v[56:57], v[20:21], v[40:41]
	v_fma_f64 v[8:9], v[48:49], s[16:17], v[8:9]
	v_add_f64 v[60:61], v[30:31], -v[38:39]
	v_add_f64 v[66:67], v[10:11], v[44:45]
	v_fma_f64 v[10:11], v[64:65], s[4:5], v[52:53]
	v_add_f64 v[74:75], v[24:25], -v[20:21]
	v_add_f64 v[76:77], v[32:33], -v[40:41]
	s_mov_b32 s6, 0x372fe950
	s_mov_b32 s7, 0x3fd3c6ef
	v_fma_f64 v[44:45], v[46:47], s[6:7], v[54:55]
	v_add_f64 v[68:69], v[26:27], -v[34:35]
	v_fma_f64 v[54:55], v[56:57], -0.5, v[4:5]
	v_fma_f64 v[46:47], v[46:47], s[6:7], v[8:9]
	v_add_f64 v[8:9], v[14:15], -v[18:19]
	v_add_f64 v[56:57], v[38:39], -v[30:31]
	v_fma_f64 v[52:53], v[64:65], s[10:11], v[52:53]
	v_fma_f64 v[10:11], v[62:63], s[16:17], v[10:11]
	v_add_f64 v[58:59], v[58:59], v[60:61]
	v_add_f64 v[78:79], v[22:23], v[42:43]
	;; [unrolled: 1-line block ×5, first 2 shown]
	v_add_f64 v[72:73], v[22:23], -v[42:43]
	v_fma_f64 v[70:71], v[68:69], s[10:11], v[54:55]
	v_fma_f64 v[52:53], v[62:63], s[2:3], v[52:53]
	v_add_f64 v[82:83], v[8:9], v[56:57]
	v_fma_f64 v[60:61], v[58:59], s[6:7], v[10:11]
	v_add_f64 v[8:9], v[20:21], -v[24:25]
	v_add_f64 v[10:11], v[40:41], -v[32:33]
	;; [unrolled: 1-line block ×3, first 2 shown]
	v_fma_f64 v[56:57], v[78:79], -0.5, v[6:7]
	v_add_f64 v[86:87], v[26:27], -v[22:23]
	v_add_f64 v[88:89], v[34:35], -v[42:43]
	;; [unrolled: 1-line block ×3, first 2 shown]
	v_fma_f64 v[97:98], v[76:77], -0.5, v[4:5]
	v_fma_f64 v[94:95], v[80:81], -0.5, v[6:7]
	v_fma_f64 v[54:55], v[68:69], s[4:5], v[54:55]
	v_fma_f64 v[78:79], v[72:73], s[2:3], v[70:71]
	;; [unrolled: 1-line block ×4, first 2 shown]
	v_add_f64 v[52:53], v[22:23], -v[26:27]
	v_add_f64 v[58:59], v[42:43], -v[34:35]
	v_add_f64 v[76:77], v[86:87], v[88:89]
	v_fma_f64 v[56:57], v[84:85], s[10:11], v[56:57]
	v_add_f64 v[99:100], v[8:9], v[10:11]
	v_fma_f64 v[8:9], v[72:73], s[10:11], v[97:98]
	v_fma_f64 v[10:11], v[103:104], s[4:5], v[94:95]
	v_add_f64 v[86:87], v[16:17], v[28:29]
	v_add_f64 v[88:89], v[18:19], v[30:31]
	v_fma_f64 v[54:55], v[72:73], s[16:17], v[54:55]
	v_fma_f64 v[80:81], v[103:104], s[16:17], v[90:91]
	;; [unrolled: 1-line block ×3, first 2 shown]
	v_add_f64 v[107:108], v[52:53], v[58:59]
	v_fma_f64 v[8:9], v[68:69], s[16:17], v[8:9]
	v_fma_f64 v[10:11], v[84:85], s[2:3], v[10:11]
	v_fma_f64 v[90:91], v[86:87], -0.5, v[0:1]
	v_fma_f64 v[92:93], v[88:89], -0.5, v[2:3]
	v_fma_f64 v[78:79], v[74:75], s[6:7], v[78:79]
	v_fma_f64 v[80:81], v[76:77], s[6:7], v[80:81]
	;; [unrolled: 1-line block ×8, first 2 shown]
	s_mov_b32 s18, 0x9b97f4a8
	s_mov_b32 s19, 0x3fe9e377
	v_mul_f64 v[56:57], v[80:81], s[4:5]
	v_mul_f64 v[58:59], v[78:79], s[10:11]
	;; [unrolled: 1-line block ×6, first 2 shown]
	v_fma_f64 v[111:112], v[50:51], s[16:17], v[74:75]
	v_fma_f64 v[113:114], v[64:65], s[2:3], v[76:77]
	;; [unrolled: 1-line block ×4, first 2 shown]
	v_fma_f64 v[76:77], v[54:55], s[4:5], -v[88:89]
	v_fma_f64 v[88:89], v[52:53], s[10:11], -v[101:102]
	;; [unrolled: 1-line block ×4, first 2 shown]
	v_fma_f64 v[80:81], v[66:67], s[6:7], v[111:112]
	v_fma_f64 v[105:106], v[82:83], s[6:7], v[113:114]
	v_add_f64 v[52:53], v[44:45], -v[74:75]
	v_add_f64 v[54:55], v[60:61], -v[86:87]
	;; [unrolled: 1-line block ×4, first 2 shown]
	v_mul_lo_u16_e32 v135, 10, v129
	v_add_f64 v[8:9], v[80:81], -v[78:79]
	v_add_f64 v[10:11], v[105:106], -v[101:102]
	; wave barrier
	s_and_saveexec_b64 s[10:11], vcc
	s_cbranch_execz .LBB0_7
; %bb.6:
	v_mul_f64 v[72:73], v[72:73], s[4:5]
	v_mul_f64 v[68:69], v[68:69], s[2:3]
	;; [unrolled: 1-line block ×3, first 2 shown]
	v_add_f64 v[14:15], v[2:3], v[14:15]
	v_add_f64 v[6:7], v[6:7], v[22:23]
	;; [unrolled: 1-line block ×4, first 2 shown]
	v_mul_f64 v[48:49], v[48:49], s[4:5]
	v_add_f64 v[72:73], v[97:98], v[72:73]
	v_mul_f64 v[62:63], v[62:63], s[4:5]
	v_mul_f64 v[97:98], v[99:100], s[6:7]
	;; [unrolled: 1-line block ×3, first 2 shown]
	v_add_f64 v[22:23], v[94:95], -v[103:104]
	v_add_f64 v[14:15], v[14:15], v[18:19]
	v_add_f64 v[6:7], v[6:7], v[26:27]
	;; [unrolled: 1-line block ×5, first 2 shown]
	v_mul_f64 v[50:51], v[50:51], s[2:3]
	v_mul_f64 v[64:65], v[64:65], s[2:3]
	;; [unrolled: 1-line block ×3, first 2 shown]
	v_add_f64 v[12:13], v[92:93], -v[62:63]
	v_add_f64 v[18:19], v[22:23], -v[84:85]
	v_add_f64 v[22:23], v[90:91], v[48:49]
	v_add_f64 v[20:21], v[97:98], v[68:69]
	v_add_f64 v[14:15], v[14:15], v[30:31]
	v_add_f64 v[6:7], v[6:7], v[34:35]
	v_add_f64 v[0:1], v[0:1], v[28:29]
	v_add_f64 v[4:5], v[4:5], v[32:33]
	v_mul_f64 v[66:67], v[66:67], s[6:7]
	v_mul_f64 v[82:83], v[82:83], s[6:7]
	v_add_f64 v[12:13], v[12:13], -v[64:65]
	v_add_f64 v[16:17], v[99:100], v[18:19]
	v_mul_f64 v[18:19], v[20:21], s[2:3]
	v_add_f64 v[22:23], v[50:51], v[22:23]
	v_mul_f64 v[20:21], v[20:21], s[18:19]
	v_add_f64 v[24:25], v[14:15], v[38:39]
	v_add_f64 v[28:29], v[6:7], v[42:43]
	;; [unrolled: 1-line block ×5, first 2 shown]
	v_fma_f64 v[26:27], v[16:17], s[18:19], -v[18:19]
	v_add_f64 v[32:33], v[66:67], v[22:23]
	v_fma_f64 v[20:21], v[16:17], s[2:3], v[20:21]
	v_add_f64 v[14:15], v[60:61], v[86:87]
	v_add_f64 v[18:19], v[24:25], -v[28:29]
	v_add_f64 v[30:31], v[24:25], v[28:29]
	v_add_f64 v[28:29], v[34:35], v[36:37]
	;; [unrolled: 1-line block ×3, first 2 shown]
	v_add_f64 v[22:23], v[12:13], -v[26:27]
	v_add_f64 v[26:27], v[12:13], v[26:27]
	v_add_f64 v[24:25], v[32:33], v[20:21]
	;; [unrolled: 1-line block ×6, first 2 shown]
	v_add_f64 v[16:17], v[34:35], -v[36:37]
	v_add_f64 v[20:21], v[32:33], -v[20:21]
	v_add_lshl_u32 v32, v131, v135, 4
	ds_write_b128 v32, v[28:31]
	ds_write_b128 v32, v[24:27] offset:16
	ds_write_b128 v32, v[12:15] offset:32
	ds_write_b128 v32, v[4:7] offset:48
	ds_write_b128 v32, v[0:3] offset:64
	ds_write_b128 v32, v[16:19] offset:80
	ds_write_b128 v32, v[20:23] offset:96
	ds_write_b128 v32, v[52:55] offset:112
	ds_write_b128 v32, v[56:59] offset:128
	ds_write_b128 v32, v[8:11] offset:144
.LBB0_7:
	s_or_b64 exec, exec, s[10:11]
	s_load_dwordx4 s[4:7], s[0:1], 0x0
	s_movk_i32 s0, 0xcd
	v_mul_lo_u16_sdwa v0, v129, s0 dst_sel:DWORD dst_unused:UNUSED_PAD src0_sel:BYTE_0 src1_sel:DWORD
	v_lshrrev_b16_e32 v64, 11, v0
	v_mul_lo_u16_e32 v0, 10, v64
	v_sub_u16_e32 v65, v129, v0
	v_mov_b32_e32 v0, 6
	v_mul_u32_u24_sdwa v0, v65, v0 dst_sel:DWORD dst_unused:UNUSED_PAD src0_sel:BYTE_0 src1_sel:DWORD
	v_lshlrev_b32_e32 v28, 4, v0
	s_waitcnt lgkmcnt(0)
	; wave barrier
	s_waitcnt lgkmcnt(0)
	global_load_dwordx4 v[16:19], v28, s[8:9]
	global_load_dwordx4 v[12:15], v28, s[8:9] offset:16
	global_load_dwordx4 v[4:7], v28, s[8:9] offset:32
	;; [unrolled: 1-line block ×5, first 2 shown]
	v_add_lshl_u32 v133, v131, v129, 4
	ds_read_b128 v[28:31], v133
	ds_read_b128 v[32:35], v133 offset:480
	ds_read_b128 v[36:39], v133 offset:960
	;; [unrolled: 1-line block ×6, first 2 shown]
	v_mul_lo_u16_e32 v64, 0x46, v64
	v_and_b32_e32 v64, 0xfe, v64
	v_add_u32_sdwa v88, v64, v65 dst_sel:DWORD dst_unused:UNUSED_PAD src0_sel:DWORD src1_sel:BYTE_0
	s_mov_b32 s2, 0x37e14327
	s_mov_b32 s0, 0x36b3c0b5
	;; [unrolled: 1-line block ×16, first 2 shown]
	v_add_lshl_u32 v136, v131, v88, 4
	s_waitcnt lgkmcnt(0)
	; wave barrier
	s_waitcnt vmcnt(5) lgkmcnt(0)
	v_mul_f64 v[64:65], v[34:35], v[18:19]
	v_mul_f64 v[66:67], v[32:33], v[18:19]
	s_waitcnt vmcnt(4)
	v_mul_f64 v[68:69], v[38:39], v[14:15]
	v_mul_f64 v[70:71], v[36:37], v[14:15]
	s_waitcnt vmcnt(1)
	;; [unrolled: 3-line block ×3, first 2 shown]
	v_mul_f64 v[84:85], v[50:51], v[26:27]
	v_mul_f64 v[86:87], v[48:49], v[26:27]
	;; [unrolled: 1-line block ×6, first 2 shown]
	v_fma_f64 v[32:33], v[32:33], v[16:17], -v[64:65]
	v_fma_f64 v[34:35], v[34:35], v[16:17], v[66:67]
	v_fma_f64 v[36:37], v[36:37], v[12:13], -v[68:69]
	v_fma_f64 v[38:39], v[38:39], v[12:13], v[70:71]
	v_fma_f64 v[60:61], v[60:61], v[20:21], -v[80:81]
	v_fma_f64 v[62:63], v[62:63], v[20:21], v[82:83]
	v_fma_f64 v[48:49], v[48:49], v[24:25], -v[84:85]
	v_fma_f64 v[50:51], v[50:51], v[24:25], v[86:87]
	v_fma_f64 v[40:41], v[40:41], v[4:5], -v[72:73]
	v_fma_f64 v[42:43], v[42:43], v[4:5], v[74:75]
	v_fma_f64 v[44:45], v[44:45], v[0:1], -v[76:77]
	v_fma_f64 v[46:47], v[46:47], v[0:1], v[78:79]
	v_add_f64 v[64:65], v[32:33], v[60:61]
	v_add_f64 v[66:67], v[34:35], v[62:63]
	v_add_f64 v[32:33], v[32:33], -v[60:61]
	v_add_f64 v[34:35], v[34:35], -v[62:63]
	v_add_f64 v[60:61], v[36:37], v[48:49]
	v_add_f64 v[62:63], v[38:39], v[50:51]
	v_add_f64 v[36:37], v[36:37], -v[48:49]
	v_add_f64 v[38:39], v[38:39], -v[50:51]
	;; [unrolled: 4-line block ×4, first 2 shown]
	v_add_f64 v[64:65], v[64:65], -v[48:49]
	v_add_f64 v[66:67], v[66:67], -v[50:51]
	;; [unrolled: 1-line block ×4, first 2 shown]
	v_add_f64 v[72:73], v[40:41], v[36:37]
	v_add_f64 v[74:75], v[42:43], v[38:39]
	v_add_f64 v[76:77], v[40:41], -v[36:37]
	v_add_f64 v[78:79], v[42:43], -v[38:39]
	v_add_f64 v[44:45], v[48:49], v[44:45]
	v_add_f64 v[46:47], v[50:51], v[46:47]
	v_add_f64 v[36:37], v[36:37], -v[32:33]
	v_add_f64 v[38:39], v[38:39], -v[34:35]
	;; [unrolled: 1-line block ×4, first 2 shown]
	v_add_f64 v[32:33], v[72:73], v[32:33]
	v_add_f64 v[34:35], v[74:75], v[34:35]
	v_mul_f64 v[48:49], v[64:65], s[2:3]
	v_mul_f64 v[50:51], v[66:67], s[2:3]
	;; [unrolled: 1-line block ×6, first 2 shown]
	v_add_f64 v[28:29], v[28:29], v[44:45]
	v_add_f64 v[30:31], v[30:31], v[46:47]
	v_mul_f64 v[76:77], v[36:37], s[10:11]
	v_mul_f64 v[78:79], v[38:39], s[10:11]
	v_fma_f64 v[60:61], v[60:61], s[0:1], v[48:49]
	v_fma_f64 v[62:63], v[62:63], s[0:1], v[50:51]
	v_fma_f64 v[64:65], v[68:69], s[20:21], -v[64:65]
	v_fma_f64 v[66:67], v[70:71], s[20:21], -v[66:67]
	s_mov_b32 s21, 0xbfe77f67
	v_fma_f64 v[80:81], v[40:41], s[22:23], v[72:73]
	v_fma_f64 v[82:83], v[42:43], s[22:23], v[74:75]
	s_mov_b32 s23, 0xbfd5d0dc
	v_fma_f64 v[44:45], v[44:45], s[16:17], v[28:29]
	v_fma_f64 v[46:47], v[46:47], s[16:17], v[30:31]
	v_fma_f64 v[48:49], v[68:69], s[20:21], -v[48:49]
	v_fma_f64 v[50:51], v[70:71], s[20:21], -v[50:51]
	;; [unrolled: 1-line block ×6, first 2 shown]
	v_fma_f64 v[68:69], v[32:33], s[24:25], v[80:81]
	v_fma_f64 v[70:71], v[34:35], s[24:25], v[82:83]
	v_add_f64 v[60:61], v[60:61], v[44:45]
	v_add_f64 v[62:63], v[62:63], v[46:47]
	v_fma_f64 v[76:77], v[32:33], s[24:25], v[40:41]
	v_fma_f64 v[78:79], v[34:35], s[24:25], v[42:43]
	v_add_f64 v[48:49], v[48:49], v[44:45]
	v_add_f64 v[50:51], v[50:51], v[46:47]
	;; [unrolled: 4-line block ×3, first 2 shown]
	v_add_f64 v[32:33], v[70:71], v[60:61]
	v_add_f64 v[34:35], v[62:63], -v[68:69]
	v_add_f64 v[36:37], v[78:79], v[48:49]
	v_add_f64 v[38:39], v[50:51], -v[76:77]
	v_add_f64 v[48:49], v[48:49], -v[78:79]
	v_add_f64 v[50:51], v[76:77], v[50:51]
	v_add_f64 v[40:41], v[44:45], -v[74:75]
	v_add_f64 v[42:43], v[72:73], v[46:47]
	v_add_f64 v[44:45], v[74:75], v[44:45]
	v_add_f64 v[46:47], v[46:47], -v[72:73]
	v_add_f64 v[64:65], v[60:61], -v[70:71]
	v_add_f64 v[66:67], v[68:69], v[62:63]
	ds_write_b128 v136, v[28:31]
	ds_write_b128 v136, v[32:35] offset:160
	ds_write_b128 v136, v[36:39] offset:320
	;; [unrolled: 1-line block ×6, first 2 shown]
	s_waitcnt lgkmcnt(0)
	; wave barrier
	s_waitcnt lgkmcnt(0)
	ds_read_b128 v[60:63], v133
	ds_read_b128 v[68:71], v133 offset:480
	ds_read_b128 v[80:83], v133 offset:1120
	;; [unrolled: 1-line block ×5, first 2 shown]
	v_cmp_gt_u16_e64 s[0:1], 10, v129
	s_and_saveexec_b64 s[2:3], s[0:1]
	s_cbranch_execz .LBB0_9
; %bb.8:
	ds_read_b128 v[64:67], v133 offset:960
	ds_read_b128 v[52:55], v133 offset:2080
	;; [unrolled: 1-line block ×3, first 2 shown]
.LBB0_9:
	s_or_b64 exec, exec, s[2:3]
	v_lshlrev_b32_e32 v28, 5, v129
	v_add_co_u32_e64 v30, s[2:3], 60, v129
	v_addc_co_u32_e64 v29, s[2:3], 0, 0, s[2:3]
	global_load_dwordx4 v[36:39], v28, s[8:9] offset:976
	global_load_dwordx4 v[40:43], v28, s[8:9] offset:960
	v_add_u32_e32 v28, 0x3c0, v28
	global_load_dwordx4 v[44:47], v28, s[8:9] offset:976
	global_load_dwordx4 v[48:51], v28, s[8:9] offset:960
	v_add_co_u32_e64 v28, s[2:3], -10, v129
	v_addc_co_u32_e64 v31, s[2:3], 0, -1, s[2:3]
	v_cndmask_b32_e64 v29, v31, v29, s[0:1]
	v_cndmask_b32_e64 v28, v28, v30, s[0:1]
	v_lshlrev_b64 v[28:29], 5, v[28:29]
	v_mov_b32_e32 v30, s9
	v_add_co_u32_e64 v88, s[2:3], s8, v28
	v_addc_co_u32_e64 v89, s[2:3], v30, v29, s[2:3]
	global_load_dwordx4 v[32:35], v[88:89], off offset:960
	global_load_dwordx4 v[28:31], v[88:89], off offset:976
	s_mov_b32 s2, 0xe8584caa
	s_mov_b32 s3, 0x3febb67a
	s_mov_b32 s9, 0xbfebb67a
	s_mov_b32 s8, s2
	v_lshl_add_u32 v134, v129, 4, v132
	s_waitcnt vmcnt(5) lgkmcnt(1)
	v_mul_f64 v[92:93], v[86:87], v[38:39]
	s_waitcnt vmcnt(4)
	v_mul_f64 v[88:89], v[82:83], v[42:43]
	v_mul_f64 v[90:91], v[80:81], v[42:43]
	;; [unrolled: 1-line block ×3, first 2 shown]
	s_waitcnt vmcnt(2)
	v_mul_f64 v[97:98], v[74:75], v[50:51]
	v_mul_f64 v[99:100], v[72:73], v[50:51]
	s_waitcnt lgkmcnt(0)
	v_mul_f64 v[101:102], v[78:79], v[46:47]
	v_mul_f64 v[103:104], v[76:77], v[46:47]
	v_fma_f64 v[84:85], v[84:85], v[36:37], -v[92:93]
	v_fma_f64 v[80:81], v[80:81], v[40:41], -v[88:89]
	v_fma_f64 v[82:83], v[82:83], v[40:41], v[90:91]
	v_fma_f64 v[86:87], v[86:87], v[36:37], v[94:95]
	v_fma_f64 v[72:73], v[72:73], v[48:49], -v[97:98]
	v_fma_f64 v[74:75], v[74:75], v[48:49], v[99:100]
	v_fma_f64 v[76:77], v[76:77], v[44:45], -v[101:102]
	s_waitcnt vmcnt(1)
	v_mul_f64 v[105:106], v[54:55], v[34:35]
	v_mul_f64 v[107:108], v[52:53], v[34:35]
	s_waitcnt vmcnt(0)
	v_mul_f64 v[109:110], v[58:59], v[30:31]
	v_mul_f64 v[111:112], v[56:57], v[30:31]
	v_fma_f64 v[78:79], v[78:79], v[44:45], v[103:104]
	v_add_f64 v[88:89], v[60:61], v[80:81]
	v_add_f64 v[90:91], v[80:81], v[84:85]
	v_add_f64 v[92:93], v[82:83], -v[86:87]
	v_fma_f64 v[52:53], v[52:53], v[32:33], -v[105:106]
	v_fma_f64 v[54:55], v[54:55], v[32:33], v[107:108]
	v_fma_f64 v[56:57], v[56:57], v[28:29], -v[109:110]
	v_fma_f64 v[58:59], v[58:59], v[28:29], v[111:112]
	v_add_f64 v[94:95], v[62:63], v[82:83]
	v_add_f64 v[82:83], v[82:83], v[86:87]
	;; [unrolled: 1-line block ×4, first 2 shown]
	v_add_f64 v[101:102], v[74:75], -v[78:79]
	v_add_f64 v[103:104], v[70:71], v[74:75]
	v_add_f64 v[74:75], v[74:75], v[78:79]
	v_add_f64 v[107:108], v[52:53], v[56:57]
	v_add_f64 v[113:114], v[54:55], v[58:59]
	v_add_f64 v[80:81], v[80:81], -v[84:85]
	v_add_f64 v[105:106], v[72:73], -v[76:77]
	v_add_f64 v[72:73], v[64:65], v[52:53]
	v_add_f64 v[109:110], v[54:55], -v[58:59]
	v_add_f64 v[111:112], v[66:67], v[54:55]
	;; [unrolled: 2-line block ×3, first 2 shown]
	v_fma_f64 v[84:85], v[90:91], -0.5, v[60:61]
	v_add_f64 v[54:55], v[94:95], v[86:87]
	v_fma_f64 v[82:83], v[82:83], -0.5, v[62:63]
	v_add_f64 v[60:61], v[97:98], v[76:77]
	;; [unrolled: 2-line block ×3, first 2 shown]
	v_fma_f64 v[78:79], v[74:75], -0.5, v[70:71]
	v_fma_f64 v[86:87], v[107:108], -0.5, v[64:65]
	;; [unrolled: 1-line block ×3, first 2 shown]
	v_add_f64 v[68:69], v[72:73], v[56:57]
	v_add_f64 v[70:71], v[111:112], v[58:59]
	v_fma_f64 v[56:57], v[92:93], s[2:3], v[84:85]
	v_fma_f64 v[72:73], v[92:93], s[8:9], v[84:85]
	;; [unrolled: 1-line block ×12, first 2 shown]
	ds_write_b128 v134, v[52:55]
	ds_write_b128 v134, v[56:59] offset:1120
	ds_write_b128 v134, v[72:75] offset:2240
	;; [unrolled: 1-line block ×5, first 2 shown]
	s_and_saveexec_b64 s[2:3], s[0:1]
	s_cbranch_execz .LBB0_11
; %bb.10:
	ds_write_b128 v134, v[68:71] offset:960
	ds_write_b128 v134, v[80:83] offset:2080
	;; [unrolled: 1-line block ×3, first 2 shown]
.LBB0_11:
	s_or_b64 exec, exec, s[2:3]
	s_waitcnt lgkmcnt(0)
	; wave barrier
	s_waitcnt lgkmcnt(0)
	s_and_saveexec_b64 s[2:3], vcc
	s_cbranch_execz .LBB0_13
; %bb.12:
	global_load_dwordx4 v[88:91], v130, s[14:15] offset:3360
	s_add_u32 s8, s14, 0xd20
	s_addc_u32 s9, s15, 0
	global_load_dwordx4 v[92:95], v130, s[8:9] offset:336
	global_load_dwordx4 v[97:100], v130, s[8:9] offset:672
	;; [unrolled: 1-line block ×9, first 2 shown]
	ds_read_b128 v[137:140], v134
	ds_read_b128 v[141:144], v134 offset:336
	ds_read_b128 v[145:148], v134 offset:672
	;; [unrolled: 1-line block ×9, first 2 shown]
	s_waitcnt vmcnt(8) lgkmcnt(8)
	v_mul_f64 v[179:180], v[143:144], v[94:95]
	v_mul_f64 v[94:95], v[141:142], v[94:95]
	s_waitcnt vmcnt(7) lgkmcnt(7)
	v_mul_f64 v[181:182], v[147:148], v[99:100]
	v_mul_f64 v[99:100], v[145:146], v[99:100]
	;; [unrolled: 3-line block ×3, first 2 shown]
	v_mul_f64 v[90:91], v[137:138], v[90:91]
	v_mul_f64 v[103:104], v[149:150], v[103:104]
	s_waitcnt vmcnt(5) lgkmcnt(5)
	v_mul_f64 v[185:186], v[155:156], v[107:108]
	v_mul_f64 v[107:108], v[153:154], v[107:108]
	s_waitcnt vmcnt(4) lgkmcnt(4)
	;; [unrolled: 3-line block ×6, first 2 shown]
	v_mul_f64 v[195:196], v[175:176], v[127:128]
	v_mul_f64 v[127:128], v[173:174], v[127:128]
	v_fma_f64 v[137:138], v[137:138], v[88:89], -v[177:178]
	v_fma_f64 v[139:140], v[139:140], v[88:89], v[90:91]
	v_fma_f64 v[88:89], v[141:142], v[92:93], -v[179:180]
	v_fma_f64 v[90:91], v[143:144], v[92:93], v[94:95]
	;; [unrolled: 2-line block ×10, first 2 shown]
	ds_write_b128 v134, v[137:140]
	ds_write_b128 v134, v[88:91] offset:336
	ds_write_b128 v134, v[92:95] offset:672
	;; [unrolled: 1-line block ×9, first 2 shown]
.LBB0_13:
	s_or_b64 exec, exec, s[2:3]
	s_waitcnt lgkmcnt(0)
	; wave barrier
	s_waitcnt lgkmcnt(0)
	s_and_saveexec_b64 s[2:3], vcc
	s_cbranch_execz .LBB0_15
; %bb.14:
	ds_read_b128 v[52:55], v134
	ds_read_b128 v[56:59], v134 offset:336
	ds_read_b128 v[72:75], v134 offset:672
	ds_read_b128 v[60:63], v134 offset:1008
	ds_read_b128 v[64:67], v134 offset:1344
	ds_read_b128 v[76:79], v134 offset:1680
	ds_read_b128 v[68:71], v134 offset:2016
	ds_read_b128 v[80:83], v134 offset:2352
	ds_read_b128 v[84:87], v134 offset:2688
	ds_read_b128 v[8:11], v134 offset:3024
.LBB0_15:
	s_or_b64 exec, exec, s[2:3]
	s_waitcnt lgkmcnt(1)
	v_add_f64 v[88:89], v[72:73], v[84:85]
	v_add_f64 v[97:98], v[66:67], -v[70:71]
	v_add_f64 v[90:91], v[64:65], -v[72:73]
	;; [unrolled: 1-line block ×3, first 2 shown]
	v_add_f64 v[94:95], v[74:75], v[86:87]
	s_waitcnt lgkmcnt(0)
	v_add_f64 v[101:102], v[62:63], v[10:11]
	s_mov_b32 s16, 0x134454ff
	s_mov_b32 s17, 0x3fee6f0e
	v_fma_f64 v[88:89], v[88:89], -0.5, v[52:53]
	v_add_f64 v[99:100], v[74:75], -v[86:87]
	v_add_f64 v[105:106], v[60:61], v[8:9]
	v_add_f64 v[111:112], v[76:77], -v[80:81]
	v_add_f64 v[90:91], v[90:91], v[92:93]
	v_fma_f64 v[92:93], v[94:95], -0.5, v[54:55]
	v_fma_f64 v[94:95], v[101:102], -0.5, v[58:59]
	s_mov_b32 s2, 0x4755a5e
	v_fma_f64 v[103:104], v[97:98], s[16:17], v[88:89]
	s_mov_b32 s3, 0xbfe2cf23
	s_mov_b32 s19, 0xbfee6f0e
	;; [unrolled: 1-line block ×3, first 2 shown]
	v_add_f64 v[121:122], v[78:79], -v[82:83]
	v_add_f64 v[125:126], v[60:61], -v[8:9]
	v_fma_f64 v[107:108], v[111:112], s[18:19], v[94:95]
	v_add_f64 v[113:114], v[78:79], -v[62:63]
	v_fma_f64 v[101:102], v[99:100], s[2:3], v[103:104]
	v_fma_f64 v[103:104], v[105:106], -0.5, v[56:57]
	v_add_f64 v[115:116], v[82:83], -v[10:11]
	v_fma_f64 v[94:95], v[111:112], s[16:17], v[94:95]
	s_mov_b32 s21, 0x3fe2cf23
	s_mov_b32 s20, s2
	v_add_f64 v[109:110], v[64:65], -v[68:69]
	v_add_f64 v[127:128], v[62:63], -v[10:11]
	;; [unrolled: 1-line block ×3, first 2 shown]
	v_fma_f64 v[117:118], v[121:122], s[16:17], v[103:104]
	v_add_f64 v[137:138], v[80:81], -v[8:9]
	v_fma_f64 v[103:104], v[121:122], s[18:19], v[103:104]
	v_fma_f64 v[107:108], v[125:126], s[20:21], v[107:108]
	v_add_f64 v[113:114], v[113:114], v[115:116]
	v_fma_f64 v[94:95], v[125:126], s[2:3], v[94:95]
	s_mov_b32 s8, 0x372fe950
	s_mov_b32 s9, 0x3fd3c6ef
	v_fma_f64 v[88:89], v[97:98], s[18:19], v[88:89]
	v_add_f64 v[123:124], v[72:73], -v[84:85]
	v_fma_f64 v[105:106], v[109:110], s[18:19], v[92:93]
	v_add_f64 v[115:116], v[66:67], -v[74:75]
	v_add_f64 v[139:140], v[70:71], -v[86:87]
	v_fma_f64 v[92:93], v[109:110], s[16:17], v[92:93]
	v_fma_f64 v[117:118], v[127:128], s[2:3], v[117:118]
	v_add_f64 v[119:120], v[119:120], v[137:138]
	v_fma_f64 v[103:104], v[127:128], s[20:21], v[103:104]
	v_fma_f64 v[107:108], v[113:114], s[8:9], v[107:108]
	;; [unrolled: 1-line block ×3, first 2 shown]
	s_mov_b32 s11, 0xbfd3c6ef
	s_mov_b32 s10, s8
	v_fma_f64 v[88:89], v[99:100], s[20:21], v[88:89]
	v_fma_f64 v[105:106], v[123:124], s[20:21], v[105:106]
	v_add_f64 v[115:116], v[115:116], v[139:140]
	v_fma_f64 v[92:93], v[123:124], s[2:3], v[92:93]
	v_fma_f64 v[117:118], v[119:120], s[8:9], v[117:118]
	v_fma_f64 v[119:120], v[119:120], s[8:9], v[103:104]
	v_mul_f64 v[137:138], v[107:108], s[18:19]
	v_mul_f64 v[139:140], v[94:95], s[18:19]
	;; [unrolled: 1-line block ×4, first 2 shown]
	v_fma_f64 v[101:102], v[90:91], s[8:9], v[101:102]
	v_fma_f64 v[103:104], v[90:91], s[8:9], v[88:89]
	;; [unrolled: 1-line block ×8, first 2 shown]
	s_waitcnt lgkmcnt(0)
	; wave barrier
	v_add_f64 v[88:89], v[101:102], -v[105:106]
	v_add_f64 v[92:93], v[103:104], -v[107:108]
	v_add_f64 v[90:91], v[113:114], -v[117:118]
	v_add_f64 v[94:95], v[115:116], -v[119:120]
	s_and_saveexec_b64 s[10:11], vcc
	s_cbranch_execz .LBB0_17
; %bb.16:
	v_add_f64 v[137:138], v[78:79], v[82:83]
	v_add_f64 v[143:144], v[66:67], v[70:71]
	;; [unrolled: 1-line block ×3, first 2 shown]
	v_add_f64 v[139:140], v[74:75], -v[66:67]
	v_add_f64 v[145:146], v[60:61], -v[76:77]
	;; [unrolled: 1-line block ×5, first 2 shown]
	v_fma_f64 v[137:138], v[137:138], -0.5, v[58:59]
	v_add_f64 v[74:75], v[54:55], v[74:75]
	v_fma_f64 v[149:150], v[149:150], -0.5, v[56:57]
	v_fma_f64 v[54:55], v[143:144], -0.5, v[54:55]
	v_add_f64 v[58:59], v[58:59], v[62:63]
	v_add_f64 v[141:142], v[86:87], -v[70:71]
	v_add_f64 v[143:144], v[64:65], v[68:69]
	v_add_f64 v[151:152], v[151:152], v[153:154]
	v_fma_f64 v[62:63], v[125:126], s[18:19], v[137:138]
	v_add_f64 v[145:146], v[145:146], v[147:148]
	v_fma_f64 v[153:154], v[127:128], s[16:17], v[149:150]
	v_fma_f64 v[127:128], v[127:128], s[18:19], v[149:150]
	;; [unrolled: 1-line block ×5, first 2 shown]
	v_add_f64 v[155:156], v[72:73], -v[64:65]
	v_fma_f64 v[62:63], v[111:112], s[2:3], v[62:63]
	v_add_f64 v[72:73], v[52:53], v[72:73]
	v_add_f64 v[56:57], v[56:57], v[60:61]
	v_fma_f64 v[125:126], v[121:122], s[20:21], v[153:154]
	v_fma_f64 v[121:122], v[121:122], s[2:3], v[127:128]
	v_add_f64 v[127:128], v[139:140], v[141:142]
	v_fma_f64 v[52:53], v[143:144], -0.5, v[52:53]
	v_fma_f64 v[137:138], v[109:110], s[2:3], v[147:148]
	v_fma_f64 v[54:55], v[109:110], s[20:21], v[54:55]
	;; [unrolled: 1-line block ×4, first 2 shown]
	v_add_f64 v[66:67], v[74:75], v[66:67]
	v_add_f64 v[58:59], v[58:59], v[78:79]
	;; [unrolled: 1-line block ×4, first 2 shown]
	v_add_f64 v[157:158], v[84:85], -v[68:69]
	v_fma_f64 v[111:112], v[145:146], s[8:9], v[125:126]
	v_fma_f64 v[121:122], v[145:146], s[8:9], v[121:122]
	;; [unrolled: 1-line block ×6, first 2 shown]
	s_mov_b32 s22, 0x9b97f4a8
	s_mov_b32 s23, 0xbfe9e377
	v_mul_f64 v[123:124], v[62:63], s[22:23]
	v_add_f64 v[60:61], v[66:67], v[70:71]
	v_add_f64 v[58:59], v[58:59], v[82:83]
	v_add_f64 v[64:65], v[64:65], v[68:69]
	v_add_f64 v[56:57], v[56:57], v[80:81]
	v_mul_f64 v[109:110], v[121:122], s[20:21]
	v_add_f64 v[66:67], v[155:156], v[157:158]
	v_fma_f64 v[52:53], v[97:98], s[2:3], v[52:53]
	v_mul_f64 v[68:69], v[54:55], s[2:3]
	v_fma_f64 v[70:71], v[97:98], s[20:21], v[74:75]
	v_mul_f64 v[62:63], v[62:63], s[2:3]
	s_mov_b32 s25, 0x3fe9e377
	v_fma_f64 v[78:79], v[127:128], s[8:9], v[137:138]
	v_fma_f64 v[123:124], v[111:112], s[20:21], v[123:124]
	s_mov_b32 s24, s22
	v_add_f64 v[60:61], v[60:61], v[86:87]
	v_add_f64 v[76:77], v[58:59], v[10:11]
	;; [unrolled: 1-line block ×4, first 2 shown]
	v_fma_f64 v[72:73], v[54:55], s[24:25], v[109:110]
	v_fma_f64 v[52:53], v[66:67], s[8:9], v[52:53]
	;; [unrolled: 1-line block ×5, first 2 shown]
	v_add_f64 v[10:11], v[78:79], -v[123:124]
	v_add_f64 v[58:59], v[60:61], -v[76:77]
	v_add_f64 v[62:63], v[78:79], v[123:124]
	v_add_f64 v[78:79], v[60:61], v[76:77]
	v_add_f64 v[76:77], v[84:85], v[56:57]
	v_add_f64 v[54:55], v[125:126], -v[72:73]
	v_add_f64 v[74:75], v[125:126], v[72:73]
	v_add_f64 v[72:73], v[52:53], v[86:87]
	;; [unrolled: 1-line block ×7, first 2 shown]
	v_add_f64 v[56:57], v[84:85], -v[56:57]
	v_add_f64 v[52:53], v[52:53], -v[86:87]
	;; [unrolled: 1-line block ×3, first 2 shown]
	v_lshl_add_u32 v80, v135, 4, v132
	ds_write_b128 v80, v[76:79]
	ds_write_b128 v80, v[72:75] offset:16
	ds_write_b128 v80, v[68:71] offset:32
	;; [unrolled: 1-line block ×9, first 2 shown]
.LBB0_17:
	s_or_b64 exec, exec, s[10:11]
	s_waitcnt lgkmcnt(0)
	; wave barrier
	s_waitcnt lgkmcnt(0)
	ds_read_b128 v[8:11], v133 offset:480
	ds_read_b128 v[52:55], v133 offset:960
	;; [unrolled: 1-line block ×3, first 2 shown]
	ds_read_b128 v[60:63], v133
	ds_read_b128 v[64:67], v133 offset:1920
	ds_read_b128 v[68:71], v133 offset:2400
	ds_read_b128 v[72:75], v133 offset:2880
	s_mov_b32 s2, 0x37e14327
	s_waitcnt lgkmcnt(6)
	v_mul_f64 v[76:77], v[18:19], v[10:11]
	v_mul_f64 v[18:19], v[18:19], v[8:9]
	s_waitcnt lgkmcnt(5)
	v_mul_f64 v[78:79], v[14:15], v[54:55]
	v_mul_f64 v[14:15], v[14:15], v[52:53]
	s_mov_b32 s3, 0x3fe948f6
	s_mov_b32 s8, 0xe976ee23
	;; [unrolled: 1-line block ×4, first 2 shown]
	v_fma_f64 v[8:9], v[16:17], v[8:9], v[76:77]
	v_fma_f64 v[10:11], v[16:17], v[10:11], -v[18:19]
	v_fma_f64 v[16:17], v[12:13], v[52:53], v[78:79]
	v_fma_f64 v[12:13], v[12:13], v[54:55], -v[14:15]
	s_waitcnt lgkmcnt(0)
	v_mul_f64 v[14:15], v[22:23], v[74:75]
	v_mul_f64 v[18:19], v[22:23], v[72:73]
	;; [unrolled: 1-line block ×8, first 2 shown]
	v_fma_f64 v[14:15], v[20:21], v[72:73], v[14:15]
	v_fma_f64 v[18:19], v[20:21], v[74:75], -v[18:19]
	v_fma_f64 v[20:21], v[4:5], v[56:57], v[22:23]
	v_fma_f64 v[4:5], v[4:5], v[58:59], -v[6:7]
	;; [unrolled: 2-line block ×4, first 2 shown]
	v_add_f64 v[2:3], v[8:9], v[14:15]
	v_add_f64 v[26:27], v[10:11], v[18:19]
	v_add_f64 v[8:9], v[8:9], -v[14:15]
	v_add_f64 v[10:11], v[10:11], -v[18:19]
	v_add_f64 v[14:15], v[16:17], v[6:7]
	v_add_f64 v[18:19], v[12:13], v[22:23]
	v_add_f64 v[6:7], v[16:17], -v[6:7]
	v_add_f64 v[12:13], v[12:13], -v[22:23]
	;; [unrolled: 4-line block ×4, first 2 shown]
	v_add_f64 v[2:3], v[2:3], -v[16:17]
	v_add_f64 v[26:27], v[26:27], -v[22:23]
	;; [unrolled: 1-line block ×4, first 2 shown]
	v_add_f64 v[56:57], v[20:21], v[6:7]
	v_add_f64 v[58:59], v[0:1], v[12:13]
	v_add_f64 v[64:65], v[20:21], -v[6:7]
	v_add_f64 v[66:67], v[0:1], -v[12:13]
	v_add_f64 v[16:17], v[16:17], v[4:5]
	v_add_f64 v[22:23], v[22:23], v[24:25]
	v_add_f64 v[24:25], v[6:7], -v[8:9]
	v_add_f64 v[12:13], v[12:13], -v[10:11]
	v_mul_f64 v[2:3], v[2:3], s[2:3]
	v_mul_f64 v[26:27], v[26:27], s[2:3]
	s_mov_b32 s2, 0x36b3c0b5
	s_mov_b32 s3, 0x3fac98ee
	v_add_f64 v[20:21], v[8:9], -v[20:21]
	v_add_f64 v[0:1], v[10:11], -v[0:1]
	v_add_f64 v[8:9], v[56:57], v[8:9]
	v_add_f64 v[10:11], v[58:59], v[10:11]
	v_mul_f64 v[56:57], v[14:15], s[2:3]
	v_mul_f64 v[58:59], v[18:19], s[2:3]
	v_add_f64 v[4:5], v[60:61], v[16:17]
	v_add_f64 v[6:7], v[62:63], v[22:23]
	v_mul_f64 v[60:61], v[64:65], s[8:9]
	v_mul_f64 v[62:63], v[66:67], s[8:9]
	s_mov_b32 s8, 0x429ad128
	s_mov_b32 s9, 0xbfebfeb5
	v_mul_f64 v[64:65], v[24:25], s[8:9]
	v_mul_f64 v[66:67], v[12:13], s[8:9]
	v_fma_f64 v[14:15], v[14:15], s[2:3], v[2:3]
	v_fma_f64 v[18:19], v[18:19], s[2:3], v[26:27]
	s_mov_b32 s3, 0x3fe77f67
	s_mov_b32 s2, 0x5476071b
	v_fma_f64 v[56:57], v[52:53], s[2:3], -v[56:57]
	v_fma_f64 v[58:59], v[54:55], s[2:3], -v[58:59]
	s_mov_b32 s3, 0xbfe77f67
	s_mov_b32 s11, 0xbff2aaaa
	v_fma_f64 v[2:3], v[52:53], s[2:3], -v[2:3]
	v_fma_f64 v[26:27], v[54:55], s[2:3], -v[26:27]
	s_mov_b32 s3, 0xbfd5d0dc
	s_mov_b32 s2, 0xb247c609
	v_fma_f64 v[16:17], v[16:17], s[10:11], v[4:5]
	v_fma_f64 v[22:23], v[22:23], s[10:11], v[6:7]
	;; [unrolled: 1-line block ×4, first 2 shown]
	s_mov_b32 s3, 0x3fd5d0dc
	v_fma_f64 v[20:21], v[20:21], s[2:3], -v[64:65]
	v_fma_f64 v[0:1], v[0:1], s[2:3], -v[66:67]
	;; [unrolled: 1-line block ×4, first 2 shown]
	s_mov_b32 s2, 0x37c3f68c
	s_mov_b32 s3, 0xbfdc38aa
	v_add_f64 v[60:61], v[14:15], v[16:17]
	v_add_f64 v[62:63], v[18:19], v[22:23]
	v_fma_f64 v[54:55], v[10:11], s[2:3], v[54:55]
	v_fma_f64 v[52:53], v[8:9], s[2:3], v[52:53]
	v_add_f64 v[2:3], v[2:3], v[16:17]
	v_add_f64 v[26:27], v[26:27], v[22:23]
	v_fma_f64 v[0:1], v[10:11], s[2:3], v[0:1]
	v_fma_f64 v[64:65], v[8:9], s[2:3], v[20:21]
	;; [unrolled: 4-line block ×3, first 2 shown]
	v_add_f64 v[8:9], v[54:55], v[60:61]
	v_add_f64 v[10:11], v[62:63], -v[52:53]
	v_add_f64 v[12:13], v[0:1], v[2:3]
	v_add_f64 v[14:15], v[26:27], -v[64:65]
	v_add_f64 v[24:25], v[2:3], -v[0:1]
	v_add_f64 v[26:27], v[64:65], v[26:27]
	v_add_f64 v[16:17], v[56:57], -v[20:21]
	v_add_f64 v[18:19], v[22:23], v[58:59]
	v_add_f64 v[20:21], v[20:21], v[56:57]
	v_add_f64 v[22:23], v[58:59], -v[22:23]
	v_add_f64 v[0:1], v[60:61], -v[54:55]
	v_add_f64 v[2:3], v[52:53], v[62:63]
	s_waitcnt lgkmcnt(0)
	; wave barrier
	ds_write_b128 v136, v[4:7]
	ds_write_b128 v136, v[8:11] offset:160
	ds_write_b128 v136, v[12:15] offset:320
	;; [unrolled: 1-line block ×6, first 2 shown]
	s_waitcnt lgkmcnt(0)
	; wave barrier
	s_waitcnt lgkmcnt(0)
	ds_read_b128 v[8:11], v133
	ds_read_b128 v[4:7], v133 offset:480
	ds_read_b128 v[20:23], v133 offset:1120
	;; [unrolled: 1-line block ×5, first 2 shown]
	s_and_saveexec_b64 s[2:3], s[0:1]
	s_cbranch_execz .LBB0_19
; %bb.18:
	ds_read_b128 v[0:3], v133 offset:960
	ds_read_b128 v[88:91], v133 offset:2080
	;; [unrolled: 1-line block ×3, first 2 shown]
.LBB0_19:
	s_or_b64 exec, exec, s[2:3]
	s_waitcnt lgkmcnt(3)
	v_mul_f64 v[52:53], v[42:43], v[22:23]
	s_waitcnt lgkmcnt(1)
	v_mul_f64 v[54:55], v[38:39], v[26:27]
	v_mul_f64 v[42:43], v[42:43], v[20:21]
	;; [unrolled: 1-line block ×5, first 2 shown]
	s_mov_b32 s2, 0xe8584caa
	s_mov_b32 s3, 0xbfebb67a
	v_fma_f64 v[20:21], v[40:41], v[20:21], v[52:53]
	v_fma_f64 v[24:25], v[36:37], v[24:25], v[54:55]
	s_waitcnt lgkmcnt(0)
	v_mul_f64 v[52:53], v[46:47], v[18:19]
	v_mul_f64 v[46:47], v[46:47], v[16:17]
	v_fma_f64 v[22:23], v[40:41], v[22:23], -v[42:43]
	v_fma_f64 v[26:27], v[36:37], v[26:27], -v[38:39]
	v_fma_f64 v[38:39], v[48:49], v[12:13], v[56:57]
	v_fma_f64 v[14:15], v[48:49], v[14:15], -v[50:51]
	v_add_f64 v[12:13], v[8:9], v[20:21]
	v_add_f64 v[36:37], v[20:21], v[24:25]
	v_fma_f64 v[40:41], v[44:45], v[16:17], v[52:53]
	v_fma_f64 v[42:43], v[44:45], v[18:19], -v[46:47]
	v_add_f64 v[20:21], v[20:21], -v[24:25]
	v_add_f64 v[18:19], v[22:23], v[26:27]
	v_add_f64 v[16:17], v[22:23], -v[26:27]
	v_add_f64 v[22:23], v[10:11], v[22:23]
	s_mov_b32 s9, 0x3febb67a
	v_fma_f64 v[36:37], v[36:37], -0.5, v[8:9]
	v_add_f64 v[44:45], v[38:39], v[40:41]
	v_add_f64 v[46:47], v[14:15], v[42:43]
	s_mov_b32 s8, s2
	v_fma_f64 v[18:19], v[18:19], -0.5, v[10:11]
	v_add_f64 v[8:9], v[12:13], v[24:25]
	v_add_f64 v[24:25], v[4:5], v[38:39]
	;; [unrolled: 1-line block ×3, first 2 shown]
	v_fma_f64 v[12:13], v[16:17], s[2:3], v[36:37]
	v_fma_f64 v[16:17], v[16:17], s[8:9], v[36:37]
	v_fma_f64 v[36:37], v[44:45], -0.5, v[4:5]
	v_add_f64 v[44:45], v[14:15], -v[42:43]
	v_fma_f64 v[46:47], v[46:47], -0.5, v[6:7]
	v_add_f64 v[38:39], v[38:39], -v[40:41]
	v_add_f64 v[10:11], v[22:23], v[26:27]
	v_fma_f64 v[14:15], v[20:21], s[8:9], v[18:19]
	v_fma_f64 v[18:19], v[20:21], s[2:3], v[18:19]
	v_add_f64 v[4:5], v[24:25], v[40:41]
	v_add_f64 v[6:7], v[48:49], v[42:43]
	v_fma_f64 v[20:21], v[44:45], s[2:3], v[36:37]
	v_fma_f64 v[24:25], v[44:45], s[8:9], v[36:37]
	;; [unrolled: 1-line block ×4, first 2 shown]
	ds_write_b128 v134, v[8:11]
	ds_write_b128 v134, v[12:15] offset:1120
	ds_write_b128 v134, v[16:19] offset:2240
	;; [unrolled: 1-line block ×5, first 2 shown]
	s_and_saveexec_b64 s[10:11], s[0:1]
	s_cbranch_execz .LBB0_21
; %bb.20:
	v_mul_f64 v[4:5], v[34:35], v[88:89]
	v_mul_f64 v[6:7], v[30:31], v[92:93]
	;; [unrolled: 1-line block ×4, first 2 shown]
	v_fma_f64 v[4:5], v[32:33], v[90:91], -v[4:5]
	v_fma_f64 v[6:7], v[28:29], v[94:95], -v[6:7]
	v_fma_f64 v[8:9], v[32:33], v[88:89], v[8:9]
	v_fma_f64 v[10:11], v[28:29], v[92:93], v[10:11]
	v_add_f64 v[18:19], v[2:3], v[4:5]
	v_add_f64 v[12:13], v[4:5], v[6:7]
	v_add_f64 v[4:5], v[4:5], -v[6:7]
	v_add_f64 v[14:15], v[8:9], v[10:11]
	v_add_f64 v[16:17], v[8:9], -v[10:11]
	v_add_f64 v[8:9], v[0:1], v[8:9]
	v_fma_f64 v[12:13], v[12:13], -0.5, v[2:3]
	v_add_f64 v[2:3], v[18:19], v[6:7]
	v_fma_f64 v[14:15], v[14:15], -0.5, v[0:1]
	v_add_f64 v[0:1], v[8:9], v[10:11]
	v_fma_f64 v[10:11], v[16:17], s[8:9], v[12:13]
	v_fma_f64 v[6:7], v[16:17], s[2:3], v[12:13]
	;; [unrolled: 1-line block ×4, first 2 shown]
	ds_write_b128 v134, v[0:3] offset:960
	ds_write_b128 v134, v[8:11] offset:2080
	;; [unrolled: 1-line block ×3, first 2 shown]
.LBB0_21:
	s_or_b64 exec, exec, s[10:11]
	s_waitcnt lgkmcnt(0)
	; wave barrier
	s_waitcnt lgkmcnt(0)
	s_and_b64 exec, exec, vcc
	s_cbranch_execz .LBB0_23
; %bb.22:
	global_load_dwordx4 v[0:3], v130, s[14:15]
	global_load_dwordx4 v[4:7], v130, s[14:15] offset:336
	global_load_dwordx4 v[8:11], v130, s[14:15] offset:672
	global_load_dwordx4 v[12:15], v130, s[14:15] offset:1008
	global_load_dwordx4 v[16:19], v130, s[14:15] offset:1344
	global_load_dwordx4 v[20:23], v130, s[14:15] offset:1680
	global_load_dwordx4 v[24:27], v130, s[14:15] offset:2016
	global_load_dwordx4 v[28:31], v130, s[14:15] offset:2352
	global_load_dwordx4 v[32:35], v130, s[14:15] offset:2688
	global_load_dwordx4 v[36:39], v130, s[14:15] offset:3024
	v_mad_u64_u32 v[72:73], s[0:1], s6, v96, 0
	v_mad_u64_u32 v[74:75], s[2:3], s4, v129, 0
	s_mul_i32 s3, s5, 0x150
	s_mul_hi_u32 s6, s4, 0x150
	s_add_i32 s3, s6, s3
	v_mad_u64_u32 v[76:77], s[6:7], s7, v96, v[73:74]
	s_mul_i32 s2, s4, 0x150
	v_mov_b32_e32 v79, s13
	v_mad_u64_u32 v[77:78], s[4:5], s5, v129, v[75:76]
	v_mov_b32_e32 v73, v76
	v_lshlrev_b64 v[72:73], 4, v[72:73]
	v_mov_b32_e32 v75, v77
	v_lshlrev_b64 v[74:75], 4, v[74:75]
	v_add_co_u32_e32 v72, vcc, s12, v72
	v_addc_co_u32_e32 v73, vcc, v79, v73, vcc
	v_add_co_u32_e32 v72, vcc, v72, v74
	v_addc_co_u32_e32 v73, vcc, v73, v75, vcc
	v_lshl_add_u32 v94, v131, 4, v130
	ds_read_b128 v[40:43], v134
	ds_read_b128 v[44:47], v94 offset:336
	v_mov_b32_e32 v80, s3
	v_add_co_u32_e32 v74, vcc, s2, v72
	v_addc_co_u32_e32 v75, vcc, v73, v80, vcc
	v_mov_b32_e32 v81, s3
	v_add_co_u32_e32 v76, vcc, s2, v74
	v_addc_co_u32_e32 v77, vcc, v75, v81, vcc
	v_mov_b32_e32 v82, s3
	v_add_co_u32_e32 v78, vcc, s2, v76
	v_addc_co_u32_e32 v79, vcc, v77, v82, vcc
	ds_read_b128 v[48:51], v94 offset:672
	ds_read_b128 v[52:55], v94 offset:1008
	;; [unrolled: 1-line block ×6, first 2 shown]
	s_mov_b32 s0, 0x13813814
	s_mov_b32 s1, 0x3f738138
	v_mov_b32_e32 v95, s3
	s_waitcnt vmcnt(9) lgkmcnt(7)
	v_mul_f64 v[80:81], v[42:43], v[2:3]
	v_mul_f64 v[2:3], v[40:41], v[2:3]
	s_waitcnt vmcnt(8) lgkmcnt(6)
	v_mul_f64 v[82:83], v[46:47], v[6:7]
	v_mul_f64 v[6:7], v[44:45], v[6:7]
	;; [unrolled: 3-line block ×6, first 2 shown]
	v_fma_f64 v[40:41], v[40:41], v[0:1], v[80:81]
	v_fma_f64 v[2:3], v[0:1], v[42:43], -v[2:3]
	v_fma_f64 v[42:43], v[44:45], v[4:5], v[82:83]
	v_fma_f64 v[6:7], v[4:5], v[46:47], -v[6:7]
	;; [unrolled: 2-line block ×5, first 2 shown]
	v_mul_f64 v[0:1], v[40:41], s[0:1]
	v_mul_f64 v[2:3], v[2:3], s[0:1]
	v_fma_f64 v[40:41], v[60:61], v[20:21], v[90:91]
	v_fma_f64 v[20:21], v[20:21], v[62:63], -v[22:23]
	s_waitcnt vmcnt(3) lgkmcnt(1)
	v_mul_f64 v[92:93], v[66:67], v[26:27]
	v_mul_f64 v[26:27], v[64:65], v[26:27]
	;; [unrolled: 1-line block ×10, first 2 shown]
	global_store_dwordx4 v[72:73], v[0:3], off
	global_store_dwordx4 v[74:75], v[4:7], off
	;; [unrolled: 1-line block ×4, first 2 shown]
	v_mul_f64 v[0:1], v[40:41], s[0:1]
	v_mul_f64 v[2:3], v[20:21], s[0:1]
	v_fma_f64 v[6:7], v[64:65], v[24:25], v[92:93]
	v_fma_f64 v[8:9], v[24:25], v[66:67], -v[26:27]
	s_waitcnt vmcnt(6) lgkmcnt(0)
	v_mul_f64 v[10:11], v[70:71], v[30:31]
	v_add_co_u32_e32 v4, vcc, s2, v78
	v_addc_co_u32_e32 v5, vcc, v79, v95, vcc
	v_mul_f64 v[12:13], v[68:69], v[30:31]
	v_mov_b32_e32 v15, s3
	v_add_co_u32_e32 v14, vcc, s2, v4
	v_addc_co_u32_e32 v15, vcc, v5, v15, vcc
	global_store_dwordx4 v[4:5], v[16:19], off
	global_store_dwordx4 v[14:15], v[0:3], off
	v_fma_f64 v[16:17], v[68:69], v[28:29], v[10:11]
	v_mul_f64 v[0:1], v[6:7], s[0:1]
	v_mul_f64 v[2:3], v[8:9], s[0:1]
	ds_read_b128 v[4:7], v94 offset:2688
	ds_read_b128 v[8:11], v94 offset:3024
	v_mov_b32_e32 v18, s3
	v_add_co_u32_e32 v14, vcc, s2, v14
	v_fma_f64 v[12:13], v[28:29], v[70:71], -v[12:13]
	v_addc_co_u32_e32 v15, vcc, v15, v18, vcc
	s_waitcnt vmcnt(7) lgkmcnt(1)
	v_mul_f64 v[18:19], v[6:7], v[34:35]
	v_mul_f64 v[20:21], v[4:5], v[34:35]
	s_waitcnt vmcnt(6) lgkmcnt(0)
	v_mul_f64 v[22:23], v[10:11], v[38:39]
	v_mul_f64 v[24:25], v[8:9], v[38:39]
	global_store_dwordx4 v[14:15], v[0:3], off
	v_fma_f64 v[4:5], v[4:5], v[32:33], v[18:19]
	v_mul_f64 v[0:1], v[16:17], s[0:1]
	v_mul_f64 v[2:3], v[12:13], s[0:1]
	v_fma_f64 v[6:7], v[32:33], v[6:7], -v[20:21]
	v_fma_f64 v[8:9], v[8:9], v[36:37], v[22:23]
	v_fma_f64 v[10:11], v[36:37], v[10:11], -v[24:25]
	v_mov_b32_e32 v13, s3
	v_add_co_u32_e32 v12, vcc, s2, v14
	v_addc_co_u32_e32 v13, vcc, v15, v13, vcc
	global_store_dwordx4 v[12:13], v[0:3], off
	v_mov_b32_e32 v14, s3
	v_mul_f64 v[0:1], v[4:5], s[0:1]
	v_mul_f64 v[2:3], v[6:7], s[0:1]
	;; [unrolled: 1-line block ×4, first 2 shown]
	v_add_co_u32_e32 v8, vcc, s2, v12
	v_addc_co_u32_e32 v9, vcc, v13, v14, vcc
	global_store_dwordx4 v[8:9], v[0:3], off
	s_nop 0
	v_mov_b32_e32 v1, s3
	v_add_co_u32_e32 v0, vcc, s2, v8
	v_addc_co_u32_e32 v1, vcc, v9, v1, vcc
	global_store_dwordx4 v[0:1], v[4:7], off
.LBB0_23:
	s_endpgm
	.section	.rodata,"a",@progbits
	.p2align	6, 0x0
	.amdhsa_kernel bluestein_single_fwd_len210_dim1_dp_op_CI_CI
		.amdhsa_group_segment_fixed_size 6720
		.amdhsa_private_segment_fixed_size 0
		.amdhsa_kernarg_size 104
		.amdhsa_user_sgpr_count 6
		.amdhsa_user_sgpr_private_segment_buffer 1
		.amdhsa_user_sgpr_dispatch_ptr 0
		.amdhsa_user_sgpr_queue_ptr 0
		.amdhsa_user_sgpr_kernarg_segment_ptr 1
		.amdhsa_user_sgpr_dispatch_id 0
		.amdhsa_user_sgpr_flat_scratch_init 0
		.amdhsa_user_sgpr_private_segment_size 0
		.amdhsa_uses_dynamic_stack 0
		.amdhsa_system_sgpr_private_segment_wavefront_offset 0
		.amdhsa_system_sgpr_workgroup_id_x 1
		.amdhsa_system_sgpr_workgroup_id_y 0
		.amdhsa_system_sgpr_workgroup_id_z 0
		.amdhsa_system_sgpr_workgroup_info 0
		.amdhsa_system_vgpr_workitem_id 0
		.amdhsa_next_free_vgpr 197
		.amdhsa_next_free_sgpr 26
		.amdhsa_reserve_vcc 1
		.amdhsa_reserve_flat_scratch 0
		.amdhsa_float_round_mode_32 0
		.amdhsa_float_round_mode_16_64 0
		.amdhsa_float_denorm_mode_32 3
		.amdhsa_float_denorm_mode_16_64 3
		.amdhsa_dx10_clamp 1
		.amdhsa_ieee_mode 1
		.amdhsa_fp16_overflow 0
		.amdhsa_exception_fp_ieee_invalid_op 0
		.amdhsa_exception_fp_denorm_src 0
		.amdhsa_exception_fp_ieee_div_zero 0
		.amdhsa_exception_fp_ieee_overflow 0
		.amdhsa_exception_fp_ieee_underflow 0
		.amdhsa_exception_fp_ieee_inexact 0
		.amdhsa_exception_int_div_zero 0
	.end_amdhsa_kernel
	.text
.Lfunc_end0:
	.size	bluestein_single_fwd_len210_dim1_dp_op_CI_CI, .Lfunc_end0-bluestein_single_fwd_len210_dim1_dp_op_CI_CI
                                        ; -- End function
	.section	.AMDGPU.csdata,"",@progbits
; Kernel info:
; codeLenInByte = 9820
; NumSgprs: 30
; NumVgprs: 197
; ScratchSize: 0
; MemoryBound: 0
; FloatMode: 240
; IeeeMode: 1
; LDSByteSize: 6720 bytes/workgroup (compile time only)
; SGPRBlocks: 3
; VGPRBlocks: 49
; NumSGPRsForWavesPerEU: 30
; NumVGPRsForWavesPerEU: 197
; Occupancy: 1
; WaveLimiterHint : 1
; COMPUTE_PGM_RSRC2:SCRATCH_EN: 0
; COMPUTE_PGM_RSRC2:USER_SGPR: 6
; COMPUTE_PGM_RSRC2:TRAP_HANDLER: 0
; COMPUTE_PGM_RSRC2:TGID_X_EN: 1
; COMPUTE_PGM_RSRC2:TGID_Y_EN: 0
; COMPUTE_PGM_RSRC2:TGID_Z_EN: 0
; COMPUTE_PGM_RSRC2:TIDIG_COMP_CNT: 0
	.type	__hip_cuid_b64ad6d7afa86da6,@object ; @__hip_cuid_b64ad6d7afa86da6
	.section	.bss,"aw",@nobits
	.globl	__hip_cuid_b64ad6d7afa86da6
__hip_cuid_b64ad6d7afa86da6:
	.byte	0                               ; 0x0
	.size	__hip_cuid_b64ad6d7afa86da6, 1

	.ident	"AMD clang version 19.0.0git (https://github.com/RadeonOpenCompute/llvm-project roc-6.4.0 25133 c7fe45cf4b819c5991fe208aaa96edf142730f1d)"
	.section	".note.GNU-stack","",@progbits
	.addrsig
	.addrsig_sym __hip_cuid_b64ad6d7afa86da6
	.amdgpu_metadata
---
amdhsa.kernels:
  - .args:
      - .actual_access:  read_only
        .address_space:  global
        .offset:         0
        .size:           8
        .value_kind:     global_buffer
      - .actual_access:  read_only
        .address_space:  global
        .offset:         8
        .size:           8
        .value_kind:     global_buffer
      - .actual_access:  read_only
        .address_space:  global
        .offset:         16
        .size:           8
        .value_kind:     global_buffer
      - .actual_access:  read_only
        .address_space:  global
        .offset:         24
        .size:           8
        .value_kind:     global_buffer
      - .actual_access:  read_only
        .address_space:  global
        .offset:         32
        .size:           8
        .value_kind:     global_buffer
      - .offset:         40
        .size:           8
        .value_kind:     by_value
      - .address_space:  global
        .offset:         48
        .size:           8
        .value_kind:     global_buffer
      - .address_space:  global
        .offset:         56
        .size:           8
        .value_kind:     global_buffer
      - .address_space:  global
        .offset:         64
        .size:           8
        .value_kind:     global_buffer
      - .address_space:  global
        .offset:         72
        .size:           8
        .value_kind:     global_buffer
      - .offset:         80
        .size:           4
        .value_kind:     by_value
      - .address_space:  global
        .offset:         88
        .size:           8
        .value_kind:     global_buffer
      - .address_space:  global
        .offset:         96
        .size:           8
        .value_kind:     global_buffer
    .group_segment_fixed_size: 6720
    .kernarg_segment_align: 8
    .kernarg_segment_size: 104
    .language:       OpenCL C
    .language_version:
      - 2
      - 0
    .max_flat_workgroup_size: 60
    .name:           bluestein_single_fwd_len210_dim1_dp_op_CI_CI
    .private_segment_fixed_size: 0
    .sgpr_count:     30
    .sgpr_spill_count: 0
    .symbol:         bluestein_single_fwd_len210_dim1_dp_op_CI_CI.kd
    .uniform_work_group_size: 1
    .uses_dynamic_stack: false
    .vgpr_count:     197
    .vgpr_spill_count: 0
    .wavefront_size: 64
amdhsa.target:   amdgcn-amd-amdhsa--gfx906
amdhsa.version:
  - 1
  - 2
...

	.end_amdgpu_metadata
